;; amdgpu-corpus repo=ROCm/rocFFT kind=compiled arch=gfx1030 opt=O3
	.text
	.amdgcn_target "amdgcn-amd-amdhsa--gfx1030"
	.amdhsa_code_object_version 6
	.protected	fft_rtc_fwd_len1848_factors_3_11_7_4_2_wgs_231_tpt_231_halfLds_dp_op_CI_CI_unitstride_sbrr_C2R_dirReg ; -- Begin function fft_rtc_fwd_len1848_factors_3_11_7_4_2_wgs_231_tpt_231_halfLds_dp_op_CI_CI_unitstride_sbrr_C2R_dirReg
	.globl	fft_rtc_fwd_len1848_factors_3_11_7_4_2_wgs_231_tpt_231_halfLds_dp_op_CI_CI_unitstride_sbrr_C2R_dirReg
	.p2align	8
	.type	fft_rtc_fwd_len1848_factors_3_11_7_4_2_wgs_231_tpt_231_halfLds_dp_op_CI_CI_unitstride_sbrr_C2R_dirReg,@function
fft_rtc_fwd_len1848_factors_3_11_7_4_2_wgs_231_tpt_231_halfLds_dp_op_CI_CI_unitstride_sbrr_C2R_dirReg: ; @fft_rtc_fwd_len1848_factors_3_11_7_4_2_wgs_231_tpt_231_halfLds_dp_op_CI_CI_unitstride_sbrr_C2R_dirReg
; %bb.0:
	s_clause 0x2
	s_load_dwordx4 s[12:15], s[4:5], 0x0
	s_load_dwordx4 s[8:11], s[4:5], 0x58
	;; [unrolled: 1-line block ×3, first 2 shown]
	v_mul_u32_u24_e32 v1, 0x11c, v0
	v_mov_b32_e32 v3, 0
	v_add_nc_u32_sdwa v5, s6, v1 dst_sel:DWORD dst_unused:UNUSED_PAD src0_sel:DWORD src1_sel:WORD_1
	v_mov_b32_e32 v1, 0
	v_mov_b32_e32 v6, v3
	v_mov_b32_e32 v2, 0
	s_waitcnt lgkmcnt(0)
	v_cmp_lt_u64_e64 s0, s[14:15], 2
	s_and_b32 vcc_lo, exec_lo, s0
	s_cbranch_vccnz .LBB0_8
; %bb.1:
	s_load_dwordx2 s[0:1], s[4:5], 0x10
	v_mov_b32_e32 v1, 0
	v_mov_b32_e32 v2, 0
	s_add_u32 s2, s18, 8
	s_addc_u32 s3, s19, 0
	s_add_u32 s6, s16, 8
	s_addc_u32 s7, s17, 0
	v_mov_b32_e32 v57, v2
	v_mov_b32_e32 v56, v1
	s_mov_b64 s[22:23], 1
	s_waitcnt lgkmcnt(0)
	s_add_u32 s20, s0, 8
	s_addc_u32 s21, s1, 0
.LBB0_2:                                ; =>This Inner Loop Header: Depth=1
	s_load_dwordx2 s[24:25], s[20:21], 0x0
                                        ; implicit-def: $vgpr58_vgpr59
	s_mov_b32 s0, exec_lo
	s_waitcnt lgkmcnt(0)
	v_or_b32_e32 v4, s25, v6
	v_cmpx_ne_u64_e32 0, v[3:4]
	s_xor_b32 s1, exec_lo, s0
	s_cbranch_execz .LBB0_4
; %bb.3:                                ;   in Loop: Header=BB0_2 Depth=1
	v_cvt_f32_u32_e32 v4, s24
	v_cvt_f32_u32_e32 v7, s25
	s_sub_u32 s0, 0, s24
	s_subb_u32 s26, 0, s25
	v_fmac_f32_e32 v4, 0x4f800000, v7
	v_rcp_f32_e32 v4, v4
	v_mul_f32_e32 v4, 0x5f7ffffc, v4
	v_mul_f32_e32 v7, 0x2f800000, v4
	v_trunc_f32_e32 v7, v7
	v_fmac_f32_e32 v4, 0xcf800000, v7
	v_cvt_u32_f32_e32 v7, v7
	v_cvt_u32_f32_e32 v4, v4
	v_mul_lo_u32 v8, s0, v7
	v_mul_hi_u32 v9, s0, v4
	v_mul_lo_u32 v10, s26, v4
	v_add_nc_u32_e32 v8, v9, v8
	v_mul_lo_u32 v9, s0, v4
	v_add_nc_u32_e32 v8, v8, v10
	v_mul_hi_u32 v10, v4, v9
	v_mul_lo_u32 v11, v4, v8
	v_mul_hi_u32 v12, v4, v8
	v_mul_hi_u32 v13, v7, v9
	v_mul_lo_u32 v9, v7, v9
	v_mul_hi_u32 v14, v7, v8
	v_mul_lo_u32 v8, v7, v8
	v_add_co_u32 v10, vcc_lo, v10, v11
	v_add_co_ci_u32_e32 v11, vcc_lo, 0, v12, vcc_lo
	v_add_co_u32 v9, vcc_lo, v10, v9
	v_add_co_ci_u32_e32 v9, vcc_lo, v11, v13, vcc_lo
	v_add_co_ci_u32_e32 v10, vcc_lo, 0, v14, vcc_lo
	v_add_co_u32 v8, vcc_lo, v9, v8
	v_add_co_ci_u32_e32 v9, vcc_lo, 0, v10, vcc_lo
	v_add_co_u32 v4, vcc_lo, v4, v8
	v_add_co_ci_u32_e32 v7, vcc_lo, v7, v9, vcc_lo
	v_mul_hi_u32 v8, s0, v4
	v_mul_lo_u32 v10, s26, v4
	v_mul_lo_u32 v9, s0, v7
	v_add_nc_u32_e32 v8, v8, v9
	v_mul_lo_u32 v9, s0, v4
	v_add_nc_u32_e32 v8, v8, v10
	v_mul_hi_u32 v10, v4, v9
	v_mul_lo_u32 v11, v4, v8
	v_mul_hi_u32 v12, v4, v8
	v_mul_hi_u32 v13, v7, v9
	v_mul_lo_u32 v9, v7, v9
	v_mul_hi_u32 v14, v7, v8
	v_mul_lo_u32 v8, v7, v8
	v_add_co_u32 v10, vcc_lo, v10, v11
	v_add_co_ci_u32_e32 v11, vcc_lo, 0, v12, vcc_lo
	v_add_co_u32 v9, vcc_lo, v10, v9
	v_add_co_ci_u32_e32 v9, vcc_lo, v11, v13, vcc_lo
	v_add_co_ci_u32_e32 v10, vcc_lo, 0, v14, vcc_lo
	v_add_co_u32 v8, vcc_lo, v9, v8
	v_add_co_ci_u32_e32 v9, vcc_lo, 0, v10, vcc_lo
	v_add_co_u32 v4, vcc_lo, v4, v8
	v_add_co_ci_u32_e32 v11, vcc_lo, v7, v9, vcc_lo
	v_mul_hi_u32 v13, v5, v4
	v_mad_u64_u32 v[9:10], null, v6, v4, 0
	v_mad_u64_u32 v[7:8], null, v5, v11, 0
	;; [unrolled: 1-line block ×3, first 2 shown]
	v_add_co_u32 v4, vcc_lo, v13, v7
	v_add_co_ci_u32_e32 v7, vcc_lo, 0, v8, vcc_lo
	v_add_co_u32 v4, vcc_lo, v4, v9
	v_add_co_ci_u32_e32 v4, vcc_lo, v7, v10, vcc_lo
	v_add_co_ci_u32_e32 v7, vcc_lo, 0, v12, vcc_lo
	v_add_co_u32 v4, vcc_lo, v4, v11
	v_add_co_ci_u32_e32 v9, vcc_lo, 0, v7, vcc_lo
	v_mul_lo_u32 v10, s25, v4
	v_mad_u64_u32 v[7:8], null, s24, v4, 0
	v_mul_lo_u32 v11, s24, v9
	v_sub_co_u32 v7, vcc_lo, v5, v7
	v_add3_u32 v8, v8, v11, v10
	v_sub_nc_u32_e32 v10, v6, v8
	v_subrev_co_ci_u32_e64 v10, s0, s25, v10, vcc_lo
	v_add_co_u32 v11, s0, v4, 2
	v_add_co_ci_u32_e64 v12, s0, 0, v9, s0
	v_sub_co_u32 v13, s0, v7, s24
	v_sub_co_ci_u32_e32 v8, vcc_lo, v6, v8, vcc_lo
	v_subrev_co_ci_u32_e64 v10, s0, 0, v10, s0
	v_cmp_le_u32_e32 vcc_lo, s24, v13
	v_cmp_eq_u32_e64 s0, s25, v8
	v_cndmask_b32_e64 v13, 0, -1, vcc_lo
	v_cmp_le_u32_e32 vcc_lo, s25, v10
	v_cndmask_b32_e64 v14, 0, -1, vcc_lo
	v_cmp_le_u32_e32 vcc_lo, s24, v7
	;; [unrolled: 2-line block ×3, first 2 shown]
	v_cndmask_b32_e64 v15, 0, -1, vcc_lo
	v_cmp_eq_u32_e32 vcc_lo, s25, v10
	v_cndmask_b32_e64 v7, v15, v7, s0
	v_cndmask_b32_e32 v10, v14, v13, vcc_lo
	v_add_co_u32 v13, vcc_lo, v4, 1
	v_add_co_ci_u32_e32 v14, vcc_lo, 0, v9, vcc_lo
	v_cmp_ne_u32_e32 vcc_lo, 0, v10
	v_cndmask_b32_e32 v8, v14, v12, vcc_lo
	v_cndmask_b32_e32 v10, v13, v11, vcc_lo
	v_cmp_ne_u32_e32 vcc_lo, 0, v7
	v_cndmask_b32_e32 v59, v9, v8, vcc_lo
	v_cndmask_b32_e32 v58, v4, v10, vcc_lo
.LBB0_4:                                ;   in Loop: Header=BB0_2 Depth=1
	s_andn2_saveexec_b32 s0, s1
	s_cbranch_execz .LBB0_6
; %bb.5:                                ;   in Loop: Header=BB0_2 Depth=1
	v_cvt_f32_u32_e32 v4, s24
	s_sub_i32 s1, 0, s24
	v_mov_b32_e32 v59, v3
	v_rcp_iflag_f32_e32 v4, v4
	v_mul_f32_e32 v4, 0x4f7ffffe, v4
	v_cvt_u32_f32_e32 v4, v4
	v_mul_lo_u32 v7, s1, v4
	v_mul_hi_u32 v7, v4, v7
	v_add_nc_u32_e32 v4, v4, v7
	v_mul_hi_u32 v4, v5, v4
	v_mul_lo_u32 v7, v4, s24
	v_add_nc_u32_e32 v8, 1, v4
	v_sub_nc_u32_e32 v7, v5, v7
	v_subrev_nc_u32_e32 v9, s24, v7
	v_cmp_le_u32_e32 vcc_lo, s24, v7
	v_cndmask_b32_e32 v7, v7, v9, vcc_lo
	v_cndmask_b32_e32 v4, v4, v8, vcc_lo
	v_cmp_le_u32_e32 vcc_lo, s24, v7
	v_add_nc_u32_e32 v8, 1, v4
	v_cndmask_b32_e32 v58, v4, v8, vcc_lo
.LBB0_6:                                ;   in Loop: Header=BB0_2 Depth=1
	s_or_b32 exec_lo, exec_lo, s0
	v_mul_lo_u32 v4, v59, s24
	v_mul_lo_u32 v9, v58, s25
	s_load_dwordx2 s[0:1], s[6:7], 0x0
	v_mad_u64_u32 v[7:8], null, v58, s24, 0
	s_load_dwordx2 s[24:25], s[2:3], 0x0
	s_add_u32 s22, s22, 1
	s_addc_u32 s23, s23, 0
	s_add_u32 s2, s2, 8
	s_addc_u32 s3, s3, 0
	s_add_u32 s6, s6, 8
	v_add3_u32 v4, v8, v9, v4
	v_sub_co_u32 v5, vcc_lo, v5, v7
	s_addc_u32 s7, s7, 0
	s_add_u32 s20, s20, 8
	v_sub_co_ci_u32_e32 v4, vcc_lo, v6, v4, vcc_lo
	s_addc_u32 s21, s21, 0
	s_waitcnt lgkmcnt(0)
	v_mul_lo_u32 v6, s0, v4
	v_mul_lo_u32 v7, s1, v5
	v_mad_u64_u32 v[1:2], null, s0, v5, v[1:2]
	v_mul_lo_u32 v4, s24, v4
	v_mul_lo_u32 v8, s25, v5
	v_mad_u64_u32 v[56:57], null, s24, v5, v[56:57]
	v_cmp_ge_u64_e64 s0, s[22:23], s[14:15]
	v_add3_u32 v2, v7, v2, v6
	v_add3_u32 v57, v8, v57, v4
	s_and_b32 vcc_lo, exec_lo, s0
	s_cbranch_vccnz .LBB0_9
; %bb.7:                                ;   in Loop: Header=BB0_2 Depth=1
	v_mov_b32_e32 v5, v58
	v_mov_b32_e32 v6, v59
	s_branch .LBB0_2
.LBB0_8:
	v_mov_b32_e32 v57, v2
	v_mov_b32_e32 v59, v6
	;; [unrolled: 1-line block ×4, first 2 shown]
.LBB0_9:
	s_load_dwordx2 s[0:1], s[4:5], 0x28
	v_mul_hi_u32 v3, 0x11bb4a5, v0
	s_lshl_b64 s[4:5], s[14:15], 3
                                        ; implicit-def: $vgpr60
                                        ; implicit-def: $vgpr4_vgpr5
	s_add_u32 s2, s18, s4
	s_addc_u32 s3, s19, s5
	s_waitcnt lgkmcnt(0)
	v_cmp_gt_u64_e32 vcc_lo, s[0:1], v[58:59]
	v_cmp_le_u64_e64 s0, s[0:1], v[58:59]
	s_and_saveexec_b32 s1, s0
	s_xor_b32 s0, exec_lo, s1
; %bb.10:
	v_mul_u32_u24_e32 v1, 0xe7, v3
	v_mov_b32_e32 v61, 0
                                        ; implicit-def: $vgpr3
	v_sub_nc_u32_e32 v60, v0, v1
                                        ; implicit-def: $vgpr0
                                        ; implicit-def: $vgpr1_vgpr2
	v_mov_b32_e32 v4, v60
	v_mov_b32_e32 v5, v61
; %bb.11:
	s_or_saveexec_b32 s1, s0
	s_load_dwordx2 s[2:3], s[2:3], 0x0
	s_xor_b32 exec_lo, exec_lo, s1
	s_cbranch_execz .LBB0_15
; %bb.12:
	s_add_u32 s4, s16, s4
	s_addc_u32 s5, s17, s5
	v_lshlrev_b64 v[1:2], 4, v[1:2]
	s_load_dwordx2 s[4:5], s[4:5], 0x0
	v_mov_b32_e32 v61, 0
	s_waitcnt lgkmcnt(0)
	v_mul_lo_u32 v6, s5, v58
	v_mul_lo_u32 v7, s4, v59
	v_mad_u64_u32 v[4:5], null, s4, v58, 0
	s_mov_b32 s4, exec_lo
	v_add3_u32 v5, v5, v7, v6
	v_mul_u32_u24_e32 v6, 0xe7, v3
	v_lshlrev_b64 v[3:4], 4, v[4:5]
	v_sub_nc_u32_e32 v60, v0, v6
	v_lshlrev_b32_e32 v38, 4, v60
	v_add_co_u32 v0, s0, s8, v3
	v_add_co_ci_u32_e64 v3, s0, s9, v4, s0
	v_add_co_u32 v0, s0, v0, v1
	v_add_co_ci_u32_e64 v1, s0, v3, v2, s0
	v_add_co_u32 v2, s0, v0, v38
	v_add_co_ci_u32_e64 v3, s0, 0, v1, s0
	v_add_co_u32 v4, s0, 0x800, v2
	v_add_co_ci_u32_e64 v5, s0, 0, v3, s0
	v_add_co_u32 v14, s0, 0x1800, v2
	v_add_co_ci_u32_e64 v15, s0, 0, v3, s0
	v_add_co_u32 v18, s0, 0x2800, v2
	v_add_co_ci_u32_e64 v19, s0, 0, v3, s0
	v_add_co_u32 v22, s0, 0x3800, v2
	v_add_co_ci_u32_e64 v23, s0, 0, v3, s0
	v_add_co_u32 v26, s0, 0x4800, v2
	v_add_co_ci_u32_e64 v27, s0, 0, v3, s0
	v_add_co_u32 v30, s0, 0x5000, v2
	v_add_co_ci_u32_e64 v31, s0, 0, v3, s0
	v_add_co_u32 v34, s0, 0x6000, v2
	v_add_co_ci_u32_e64 v35, s0, 0, v3, s0
	s_clause 0x7
	global_load_dwordx4 v[6:9], v[2:3], off
	global_load_dwordx4 v[10:13], v[4:5], off offset:1648
	global_load_dwordx4 v[14:17], v[14:15], off offset:1248
	;; [unrolled: 1-line block ×7, first 2 shown]
	v_mov_b32_e32 v4, v60
	v_add_nc_u32_e32 v2, 0, v38
	v_mov_b32_e32 v5, v61
	s_waitcnt vmcnt(7)
	ds_write_b128 v2, v[6:9]
	s_waitcnt vmcnt(6)
	ds_write_b128 v2, v[10:13] offset:3696
	s_waitcnt vmcnt(5)
	ds_write_b128 v2, v[14:17] offset:7392
	;; [unrolled: 2-line block ×7, first 2 shown]
	v_cmpx_eq_u32_e32 0xe6, v60
	s_cbranch_execz .LBB0_14
; %bb.13:
	v_add_co_u32 v0, s0, 0x7000, v0
	v_add_co_ci_u32_e64 v1, s0, 0, v1, s0
	v_mov_b32_e32 v4, 0xe6
	v_mov_b32_e32 v5, 0
	;; [unrolled: 1-line block ×3, first 2 shown]
	global_load_dwordx4 v[0:3], v[0:1], off offset:896
	s_waitcnt vmcnt(0)
	ds_write_b128 v61, v[0:3] offset:29568
.LBB0_14:
	s_or_b32 exec_lo, exec_lo, s4
.LBB0_15:
	s_or_b32 exec_lo, exec_lo, s1
	v_lshlrev_b32_e32 v0, 4, v60
	s_waitcnt lgkmcnt(0)
	s_barrier
	buffer_gl0_inv
	v_lshlrev_b64 v[61:62], 4, v[4:5]
	v_add_nc_u32_e32 v194, 0, v0
	v_sub_nc_u32_e32 v10, 0, v0
	s_add_u32 s1, s12, 0x7350
	s_addc_u32 s4, s13, 0
	s_mov_b32 s5, exec_lo
	ds_read_b64 v[6:7], v194
	ds_read_b64 v[8:9], v10 offset:29568
	s_waitcnt lgkmcnt(0)
	v_add_f64 v[0:1], v[6:7], v[8:9]
	v_add_f64 v[2:3], v[6:7], -v[8:9]
	v_cmpx_ne_u32_e32 0, v60
	s_xor_b32 s5, exec_lo, s5
	s_cbranch_execz .LBB0_17
; %bb.16:
	v_add_co_u32 v0, s0, s1, v61
	v_add_co_ci_u32_e64 v1, s0, s4, v62, s0
	v_add_f64 v[13:14], v[6:7], v[8:9]
	v_add_f64 v[8:9], v[6:7], -v[8:9]
	global_load_dwordx4 v[2:5], v[0:1], off
	ds_read_b64 v[0:1], v10 offset:29576
	ds_read_b64 v[11:12], v194 offset:8
	s_waitcnt lgkmcnt(0)
	v_add_f64 v[6:7], v[0:1], v[11:12]
	v_add_f64 v[0:1], v[11:12], -v[0:1]
	s_waitcnt vmcnt(0)
	v_fma_f64 v[11:12], v[8:9], v[4:5], v[13:14]
	v_fma_f64 v[13:14], -v[8:9], v[4:5], v[13:14]
	v_fma_f64 v[15:16], v[6:7], v[4:5], -v[0:1]
	v_fma_f64 v[17:18], v[6:7], v[4:5], v[0:1]
	v_fma_f64 v[0:1], -v[6:7], v[2:3], v[11:12]
	v_fma_f64 v[4:5], v[6:7], v[2:3], v[13:14]
	v_fma_f64 v[6:7], v[8:9], v[2:3], v[15:16]
	;; [unrolled: 1-line block ×3, first 2 shown]
	ds_write_b128 v10, v[4:7] offset:29568
.LBB0_17:
	s_andn2_saveexec_b32 s0, s5
	s_cbranch_execz .LBB0_19
; %bb.18:
	v_mov_b32_e32 v8, 0
	ds_read_b128 v[4:7], v8 offset:14784
	s_waitcnt lgkmcnt(0)
	v_add_f64 v[4:5], v[4:5], v[4:5]
	v_mul_f64 v[6:7], v[6:7], -2.0
	ds_write_b128 v8, v[4:7] offset:14784
.LBB0_19:
	s_or_b32 exec_lo, exec_lo, s0
	v_add_nc_u32_e32 v69, 0xe7, v60
	v_mov_b32_e32 v70, 0
	v_add_nc_u32_e32 v8, 0x1ce, v60
	ds_write_b128 v194, v[0:3]
	s_mov_b32 s5, 0xbfebb67a
	v_lshlrev_b64 v[63:64], 4, v[69:70]
	v_mov_b32_e32 v9, v70
	v_lshlrev_b64 v[65:66], 4, v[8:9]
	v_add_co_u32 v4, s0, s1, v63
	v_add_co_ci_u32_e64 v5, s0, s4, v64, s0
	v_add_co_u32 v8, s0, s1, v65
	global_load_dwordx4 v[4:7], v[4:5], off
	v_add_co_ci_u32_e64 v9, s0, s4, v66, s0
	global_load_dwordx4 v[11:14], v[8:9], off
	v_add_nc_u32_e32 v8, 0x2b5, v60
	v_mov_b32_e32 v9, v70
	v_lshlrev_b64 v[67:68], 4, v[8:9]
	v_add_co_u32 v8, s0, s1, v67
	v_add_co_ci_u32_e64 v9, s0, s4, v68, s0
	s_mov_b32 s0, 0xe8584caa
	s_mov_b32 s1, 0x3febb67a
	;; [unrolled: 1-line block ×3, first 2 shown]
	global_load_dwordx4 v[15:18], v[8:9], off
	ds_read_b128 v[0:3], v194 offset:3696
	ds_read_b128 v[19:22], v10 offset:25872
	s_waitcnt lgkmcnt(0)
	v_add_f64 v[8:9], v[0:1], v[19:20]
	v_add_f64 v[23:24], v[21:22], v[2:3]
	v_add_f64 v[19:20], v[0:1], -v[19:20]
	v_add_f64 v[0:1], v[2:3], -v[21:22]
	s_waitcnt vmcnt(2)
	v_fma_f64 v[2:3], v[19:20], v[6:7], v[8:9]
	v_fma_f64 v[21:22], v[23:24], v[6:7], v[0:1]
	v_fma_f64 v[8:9], -v[19:20], v[6:7], v[8:9]
	v_fma_f64 v[25:26], v[23:24], v[6:7], -v[0:1]
	v_fma_f64 v[0:1], -v[23:24], v[4:5], v[2:3]
	v_fma_f64 v[2:3], v[19:20], v[4:5], v[21:22]
	v_fma_f64 v[6:7], v[23:24], v[4:5], v[8:9]
	v_fma_f64 v[8:9], v[19:20], v[4:5], v[25:26]
	ds_write_b128 v194, v[0:3] offset:3696
	ds_write_b128 v10, v[6:9] offset:25872
	ds_read_b128 v[0:3], v194 offset:7392
	ds_read_b128 v[4:7], v10 offset:22176
	s_waitcnt lgkmcnt(0)
	v_add_f64 v[8:9], v[0:1], v[4:5]
	v_add_f64 v[19:20], v[6:7], v[2:3]
	v_add_f64 v[21:22], v[0:1], -v[4:5]
	v_add_f64 v[0:1], v[2:3], -v[6:7]
	s_waitcnt vmcnt(1)
	v_fma_f64 v[2:3], v[21:22], v[13:14], v[8:9]
	v_fma_f64 v[4:5], v[19:20], v[13:14], v[0:1]
	v_fma_f64 v[6:7], -v[21:22], v[13:14], v[8:9]
	v_fma_f64 v[8:9], v[19:20], v[13:14], -v[0:1]
	v_fma_f64 v[0:1], -v[19:20], v[11:12], v[2:3]
	v_fma_f64 v[2:3], v[21:22], v[11:12], v[4:5]
	v_fma_f64 v[4:5], v[19:20], v[11:12], v[6:7]
	v_fma_f64 v[6:7], v[21:22], v[11:12], v[8:9]
	ds_write_b128 v194, v[0:3] offset:7392
	ds_write_b128 v10, v[4:7] offset:22176
	;; [unrolled: 18-line block ×3, first 2 shown]
	s_waitcnt lgkmcnt(0)
	s_barrier
	buffer_gl0_inv
	s_barrier
	buffer_gl0_inv
	ds_read_b128 v[0:3], v194 offset:9856
	ds_read_b128 v[4:7], v194 offset:19712
	;; [unrolled: 1-line block ×6, first 2 shown]
	ds_read_b128 v[24:27], v194
	ds_read_b128 v[28:31], v194 offset:3696
	ds_read_b128 v[32:35], v194 offset:7392
	s_waitcnt lgkmcnt(0)
	s_barrier
	buffer_gl0_inv
	v_add_f64 v[36:37], v[0:1], v[4:5]
	v_add_f64 v[38:39], v[2:3], v[6:7]
	;; [unrolled: 1-line block ×8, first 2 shown]
	v_add_f64 v[2:3], v[2:3], -v[6:7]
	v_add_f64 v[52:53], v[28:29], v[12:13]
	v_add_f64 v[54:55], v[30:31], v[14:15]
	;; [unrolled: 1-line block ×4, first 2 shown]
	v_add_f64 v[14:15], v[14:15], -v[10:11]
	v_fma_f64 v[24:25], v[36:37], -0.5, v[24:25]
	v_add_f64 v[36:37], v[0:1], -v[4:5]
	v_fma_f64 v[26:27], v[38:39], -0.5, v[26:27]
	v_fma_f64 v[28:29], v[40:41], -0.5, v[28:29]
	v_add_f64 v[38:39], v[12:13], -v[8:9]
	v_fma_f64 v[30:31], v[42:43], -0.5, v[30:31]
	v_add_f64 v[40:41], v[18:19], -v[22:23]
	;; [unrolled: 2-line block ×3, first 2 shown]
	v_fma_f64 v[34:35], v[46:47], -0.5, v[34:35]
	v_add_f64 v[16:17], v[48:49], v[4:5]
	v_add_f64 v[18:19], v[50:51], v[6:7]
	;; [unrolled: 1-line block ×6, first 2 shown]
	v_fma_f64 v[0:1], v[2:3], s[0:1], v[24:25]
	v_fma_f64 v[4:5], v[2:3], s[4:5], v[24:25]
	;; [unrolled: 1-line block ×12, first 2 shown]
	v_lshlrev_b32_e32 v36, 5, v60
	s_mov_b32 s1, exec_lo
	v_add_nc_u32_e32 v36, v194, v36
	ds_write_b128 v36, v[16:19]
	ds_write_b128 v36, v[8:11] offset:11088
	ds_write_b128 v36, v[0:3] offset:16
	;; [unrolled: 1-line block ×5, first 2 shown]
	v_cmpx_gt_u32_e32 0x9a, v60
	s_cbranch_execz .LBB0_21
; %bb.20:
	ds_write_b128 v36, v[20:23] offset:22176
	ds_write_b128 v36, v[28:31] offset:22192
	;; [unrolled: 1-line block ×3, first 2 shown]
.LBB0_21:
	s_or_b32 exec_lo, exec_lo, s1
	v_cmp_gt_u32_e64 s0, 0xa8, v60
	s_waitcnt lgkmcnt(0)
	s_barrier
	buffer_gl0_inv
                                        ; implicit-def: $vgpr42_vgpr43
                                        ; implicit-def: $vgpr38_vgpr39
	s_and_saveexec_b32 s1, s0
	s_cbranch_execz .LBB0_23
; %bb.22:
	ds_read_b128 v[16:19], v194
	ds_read_b128 v[0:3], v194 offset:2688
	ds_read_b128 v[4:7], v194 offset:5376
	;; [unrolled: 1-line block ×10, first 2 shown]
.LBB0_23:
	s_or_b32 exec_lo, exec_lo, s1
	v_and_b32_e32 v195, 0xff, v60
	v_mov_b32_e32 v45, 10
	s_mov_b32 s22, 0xf8bb580b
	s_mov_b32 s24, 0x8eee2c13
	;; [unrolled: 1-line block ×3, first 2 shown]
	v_mul_lo_u16 v44, 0xab, v195
	s_mov_b32 s18, 0xbb3a28a1
	s_mov_b32 s23, 0xbfe14ced
	;; [unrolled: 1-line block ×4, first 2 shown]
	v_lshrrev_b16 v196, 9, v44
	s_mov_b32 s19, 0xbfe82f19
	s_mov_b32 s14, 0x8764f0ba
	s_mov_b32 s4, 0xd9c712b6
	s_mov_b32 s6, 0x640f44db
	v_mul_lo_u16 v44, v196, 3
	s_mov_b32 s16, 0x7f775887
	s_mov_b32 s34, 0xfd768dbf
	s_mov_b32 s15, 0x3feaeb8c
	s_mov_b32 s5, 0x3fda9628
	v_sub_nc_u16 v197, v60, v44
	s_mov_b32 s7, 0xbfc2375f
	s_mov_b32 s17, 0xbfe4f49e
	;; [unrolled: 1-line block ×4, first 2 shown]
	v_mul_u32_u24_sdwa v44, v197, v45 dst_sel:DWORD dst_unused:UNUSED_PAD src0_sel:BYTE_0 src1_sel:DWORD
	s_mov_b32 s30, s8
	s_mov_b32 s20, 0x9bcd5057
	;; [unrolled: 1-line block ×4, first 2 shown]
	v_lshlrev_b32_e32 v94, 4, v44
	s_mov_b32 s28, s24
	s_mov_b32 s37, 0xbfd207e7
	;; [unrolled: 1-line block ×4, first 2 shown]
	s_clause 0x9
	global_load_dwordx4 v[44:47], v94, s[12:13]
	global_load_dwordx4 v[48:51], v94, s[12:13] offset:16
	global_load_dwordx4 v[52:55], v94, s[12:13] offset:144
	;; [unrolled: 1-line block ×9, first 2 shown]
	s_mov_b32 s26, s22
	s_waitcnt vmcnt(0) lgkmcnt(0)
	s_barrier
	buffer_gl0_inv
	v_mul_f64 v[98:99], v[2:3], v[46:47]
	v_mul_f64 v[46:47], v[0:1], v[46:47]
	;; [unrolled: 1-line block ×20, first 2 shown]
	v_fma_f64 v[112:113], v[0:1], v[44:45], -v[98:99]
	v_fma_f64 v[116:117], v[2:3], v[44:45], v[46:47]
	v_fma_f64 v[42:43], v[42:43], v[52:53], v[104:105]
	v_fma_f64 v[40:41], v[40:41], v[52:53], -v[106:107]
	v_fma_f64 v[50:51], v[4:5], v[48:49], -v[100:101]
	v_fma_f64 v[54:55], v[6:7], v[48:49], v[102:103]
	v_fma_f64 v[38:39], v[38:39], v[78:79], v[114:115]
	v_fma_f64 v[36:37], v[36:37], v[78:79], -v[80:81]
	v_fma_f64 v[52:53], v[8:9], v[70:71], -v[108:109]
	v_fma_f64 v[70:71], v[10:11], v[70:71], v[72:73]
	v_fma_f64 v[44:45], v[24:25], v[82:83], -v[118:119]
	v_fma_f64 v[48:49], v[26:27], v[82:83], v[84:85]
	v_fma_f64 v[26:27], v[34:35], v[86:87], v[120:121]
	v_fma_f64 v[24:25], v[32:33], v[86:87], -v[88:89]
	v_fma_f64 v[46:47], v[12:13], v[74:75], -v[110:111]
	v_fma_f64 v[72:73], v[14:15], v[74:75], v[76:77]
	v_fma_f64 v[30:31], v[30:31], v[90:91], v[122:123]
	v_fma_f64 v[28:29], v[28:29], v[90:91], -v[92:93]
	v_fma_f64 v[22:23], v[22:23], v[94:95], v[124:125]
	v_fma_f64 v[20:21], v[20:21], v[94:95], -v[96:97]
	v_add_f64 v[170:171], v[116:117], -v[42:43]
	v_add_f64 v[176:177], v[112:113], -v[40:41]
	v_add_f64 v[172:173], v[112:113], v[40:41]
	v_add_f64 v[174:175], v[116:117], v[42:43]
	v_add_f64 v[166:167], v[54:55], -v[38:39]
	v_add_f64 v[86:87], v[50:51], -v[36:37]
	v_add_f64 v[80:81], v[50:51], v[36:37]
	v_add_f64 v[92:93], v[54:55], v[38:39]
	;; [unrolled: 4-line block ×3, first 2 shown]
	v_add_f64 v[128:129], v[72:73], -v[30:31]
	v_add_f64 v[74:75], v[46:47], -v[28:29]
	;; [unrolled: 1-line block ×4, first 2 shown]
	v_add_f64 v[76:77], v[46:47], v[28:29]
	v_add_f64 v[88:89], v[72:73], v[30:31]
	;; [unrolled: 1-line block ×4, first 2 shown]
	v_mul_f64 v[178:179], v[170:171], s[22:23]
	v_mul_f64 v[184:185], v[176:177], s[22:23]
	;; [unrolled: 1-line block ×22, first 2 shown]
	v_fma_f64 v[0:1], v[172:173], s[14:15], v[178:179]
	v_fma_f64 v[2:3], v[174:175], s[14:15], -v[184:185]
	v_fma_f64 v[4:5], v[172:173], s[4:5], v[180:181]
	v_fma_f64 v[6:7], v[174:175], s[4:5], -v[186:187]
	;; [unrolled: 2-line block ×4, first 2 shown]
	v_mul_f64 v[96:97], v[156:157], s[22:23]
	v_mul_f64 v[98:99], v[78:79], s[22:23]
	v_fma_f64 v[102:103], v[80:81], s[4:5], v[148:149]
	v_fma_f64 v[106:107], v[92:93], s[4:5], -v[152:153]
	v_fma_f64 v[154:155], v[80:81], s[16:17], v[122:123]
	v_fma_f64 v[160:161], v[92:93], s[16:17], -v[124:125]
	;; [unrolled: 2-line block ×4, first 2 shown]
	v_mul_f64 v[142:143], v[128:129], s[18:19]
	v_mul_f64 v[146:147], v[74:75], s[18:19]
	;; [unrolled: 1-line block ×4, first 2 shown]
	v_add_f64 v[0:1], v[16:17], v[0:1]
	v_add_f64 v[2:3], v[18:19], v[2:3]
	v_add_f64 v[4:5], v[16:17], v[4:5]
	v_add_f64 v[6:7], v[18:19], v[6:7]
	v_add_f64 v[8:9], v[16:17], v[8:9]
	v_add_f64 v[10:11], v[18:19], v[10:11]
	v_add_f64 v[12:13], v[16:17], v[12:13]
	v_add_f64 v[14:15], v[18:19], v[14:15]
	v_mul_f64 v[134:135], v[128:129], s[22:23]
	v_mul_f64 v[138:139], v[74:75], s[22:23]
	;; [unrolled: 1-line block ×4, first 2 shown]
	v_fma_f64 v[202:203], v[82:83], s[6:7], v[144:145]
	v_fma_f64 v[204:205], v[90:91], s[6:7], -v[150:151]
	v_fma_f64 v[206:207], v[82:83], s[20:21], v[132:133]
	v_fma_f64 v[208:209], v[90:91], s[20:21], -v[136:137]
	;; [unrolled: 2-line block ×4, first 2 shown]
	v_mul_f64 v[130:131], v[126:127], s[36:37]
	v_mul_f64 v[140:141], v[32:33], s[36:37]
	v_add_f64 v[0:1], v[102:103], v[0:1]
	v_add_f64 v[2:3], v[106:107], v[2:3]
	;; [unrolled: 1-line block ×8, first 2 shown]
	v_mul_f64 v[164:165], v[126:127], s[26:27]
	v_mul_f64 v[168:169], v[32:33], s[26:27]
	v_mul_f64 v[154:155], v[126:127], s[18:19]
	v_mul_f64 v[160:161], v[32:33], s[18:19]
	v_mul_f64 v[102:103], v[126:127], s[28:29]
	v_mul_f64 v[106:107], v[32:33], s[28:29]
	v_fma_f64 v[198:199], v[76:77], s[16:17], v[142:143]
	v_fma_f64 v[200:201], v[88:89], s[16:17], -v[146:147]
	v_fma_f64 v[218:219], v[76:77], s[6:7], v[158:159]
	v_fma_f64 v[220:221], v[88:89], s[6:7], -v[162:163]
	v_fma_f64 v[222:223], v[76:77], s[14:15], v[134:135]
	v_fma_f64 v[224:225], v[88:89], s[14:15], -v[138:139]
	v_fma_f64 v[226:227], v[76:77], s[20:21], v[100:101]
	v_fma_f64 v[228:229], v[88:89], s[20:21], -v[104:105]
	v_add_f64 v[0:1], v[202:203], v[0:1]
	v_add_f64 v[2:3], v[204:205], v[2:3]
	;; [unrolled: 1-line block ×8, first 2 shown]
	v_fma_f64 v[202:203], v[34:35], s[20:21], v[130:131]
	v_fma_f64 v[204:205], v[84:85], s[20:21], -v[140:141]
	v_fma_f64 v[206:207], v[34:35], s[14:15], v[164:165]
	v_fma_f64 v[208:209], v[84:85], s[14:15], -v[168:169]
	;; [unrolled: 2-line block ×4, first 2 shown]
	v_add_f64 v[0:1], v[198:199], v[0:1]
	v_add_f64 v[2:3], v[200:201], v[2:3]
	;; [unrolled: 1-line block ×16, first 2 shown]
	s_and_saveexec_b32 s1, s0
	s_cbranch_execz .LBB0_25
; %bb.24:
	v_mul_f64 v[198:199], v[174:175], s[20:21]
	v_mul_f64 v[170:171], v[170:171], s[36:37]
	;; [unrolled: 1-line block ×3, first 2 shown]
	v_add_f64 v[116:117], v[18:19], v[116:117]
	v_mul_f64 v[156:157], v[156:157], s[18:19]
	v_mul_f64 v[202:203], v[128:129], s[28:29]
	;; [unrolled: 1-line block ×6, first 2 shown]
	v_fma_f64 v[200:201], v[176:177], s[34:35], v[198:199]
	v_fma_f64 v[176:177], v[176:177], s[36:37], v[198:199]
	v_mul_f64 v[198:199], v[174:175], s[16:17]
	v_add_f64 v[54:55], v[116:117], v[54:55]
	v_add_f64 v[126:127], v[126:127], -v[148:149]
	v_mul_f64 v[148:149], v[82:83], s[6:7]
	v_add_f64 v[128:129], v[150:151], v[128:129]
	v_add_f64 v[176:177], v[18:19], v[176:177]
	;; [unrolled: 1-line block ×3, first 2 shown]
	v_mul_f64 v[198:199], v[174:175], s[6:7]
	v_add_f64 v[54:55], v[54:55], v[70:71]
	v_add_f64 v[144:145], v[148:149], -v[144:145]
	v_mul_f64 v[148:149], v[88:89], s[16:17]
	v_add_f64 v[192:193], v[18:19], v[192:193]
	v_add_f64 v[188:189], v[188:189], v[198:199]
	v_mul_f64 v[198:199], v[174:175], s[4:5]
	v_mul_f64 v[174:175], v[174:175], s[14:15]
	v_add_f64 v[54:55], v[54:55], v[72:73]
	v_add_f64 v[146:147], v[146:147], v[148:149]
	v_mul_f64 v[148:149], v[76:77], s[16:17]
	v_add_f64 v[188:189], v[18:19], v[188:189]
	v_add_f64 v[186:187], v[186:187], v[198:199]
	v_add_f64 v[174:175], v[184:185], v[174:175]
	v_mul_f64 v[184:185], v[172:173], s[14:15]
	v_mul_f64 v[198:199], v[92:93], s[14:15]
	v_add_f64 v[48:49], v[54:55], v[48:49]
	v_add_f64 v[142:143], v[148:149], -v[142:143]
	v_mul_f64 v[148:149], v[84:85], s[20:21]
	v_add_f64 v[186:187], v[18:19], v[186:187]
	v_add_f64 v[174:175], v[18:19], v[174:175]
	v_add_f64 v[178:179], v[184:185], -v[178:179]
	v_mul_f64 v[184:185], v[172:173], s[4:5]
	v_fma_f64 v[54:55], v[86:87], s[26:27], v[198:199]
	v_add_f64 v[22:23], v[48:49], v[22:23]
	v_add_f64 v[140:141], v[140:141], v[148:149]
	;; [unrolled: 1-line block ×3, first 2 shown]
	v_add_f64 v[180:181], v[184:185], -v[180:181]
	v_mul_f64 v[184:185], v[172:173], s[6:7]
	v_add_f64 v[54:55], v[54:55], v[176:177]
	v_add_f64 v[22:23], v[22:23], v[30:31]
	;; [unrolled: 1-line block ×4, first 2 shown]
	v_add_f64 v[182:183], v[184:185], -v[182:183]
	v_mul_f64 v[184:185], v[172:173], s[16:17]
	v_add_f64 v[22:23], v[22:23], v[26:27]
	v_add_f64 v[126:127], v[144:145], v[126:127]
	;; [unrolled: 1-line block ×3, first 2 shown]
	v_add_f64 v[184:185], v[184:185], -v[190:191]
	v_fma_f64 v[190:191], v[172:173], s[20:21], v[170:171]
	v_fma_f64 v[170:171], v[172:173], s[20:21], -v[170:171]
	v_add_f64 v[172:173], v[16:17], v[112:113]
	v_add_f64 v[112:113], v[18:19], v[200:201]
	v_fma_f64 v[18:19], v[80:81], s[14:15], v[166:167]
	v_mul_f64 v[200:201], v[88:89], s[4:5]
	v_add_f64 v[38:39], v[22:23], v[38:39]
	v_add_f64 v[126:127], v[142:143], v[126:127]
	;; [unrolled: 1-line block ×5, first 2 shown]
	v_fma_f64 v[16:17], v[86:87], s[22:23], v[198:199]
	s_mov_b32 s23, 0x3fe82f19
	s_mov_b32 s22, s18
	v_add_f64 v[50:51], v[172:173], v[50:51]
	v_fma_f64 v[30:31], v[74:75], s[28:29], v[200:201]
	v_add_f64 v[18:19], v[18:19], v[190:191]
	v_mul_f64 v[190:191], v[90:91], s[16:17]
	v_add_f64 v[16:17], v[16:17], v[112:113]
	v_add_f64 v[50:51], v[50:51], v[52:53]
	v_mul_f64 v[52:53], v[90:91], s[14:15]
	v_fma_f64 v[112:113], v[78:79], s[22:23], v[190:191]
	v_add_f64 v[46:47], v[50:51], v[46:47]
	v_mul_f64 v[50:51], v[82:83], s[14:15]
	v_add_f64 v[52:53], v[98:99], v[52:53]
	v_add_f64 v[16:17], v[112:113], v[16:17]
	v_fma_f64 v[112:113], v[82:83], s[16:17], v[156:157]
	v_add_f64 v[44:45], v[46:47], v[44:45]
	v_add_f64 v[50:51], v[50:51], -v[96:97]
	v_mul_f64 v[46:47], v[88:89], s[20:21]
	v_add_f64 v[18:19], v[112:113], v[18:19]
	v_fma_f64 v[112:113], v[74:75], s[24:25], v[200:201]
	v_fma_f64 v[74:75], v[76:77], s[4:5], -v[202:203]
	v_add_f64 v[20:21], v[44:45], v[20:21]
	v_mul_f64 v[44:45], v[76:77], s[20:21]
	v_add_f64 v[46:47], v[104:105], v[46:47]
	v_add_f64 v[16:17], v[112:113], v[16:17]
	v_fma_f64 v[112:113], v[76:77], s[4:5], v[202:203]
	v_add_f64 v[20:21], v[20:21], v[28:29]
	v_add_f64 v[44:45], v[44:45], -v[100:101]
	v_mul_f64 v[28:29], v[84:85], s[4:5]
	v_add_f64 v[112:113], v[112:113], v[18:19]
	v_fma_f64 v[18:19], v[32:33], s[30:31], v[206:207]
	v_add_f64 v[20:21], v[20:21], v[24:25]
	v_mul_f64 v[24:25], v[34:35], s[4:5]
	v_add_f64 v[28:29], v[106:107], v[28:29]
	v_fma_f64 v[32:33], v[32:33], s[8:9], v[206:207]
	v_add_f64 v[18:19], v[18:19], v[16:17]
	v_fma_f64 v[16:17], v[34:35], s[6:7], v[204:205]
	v_add_f64 v[24:25], v[24:25], -v[102:103]
	v_add_f64 v[36:37], v[20:21], v[36:37]
	v_add_f64 v[16:17], v[16:17], v[112:113]
	v_mul_f64 v[112:113], v[92:93], s[4:5]
	v_add_f64 v[112:113], v[152:153], v[112:113]
	v_add_f64 v[112:113], v[112:113], v[174:175]
	;; [unrolled: 1-line block ×3, first 2 shown]
	v_mul_f64 v[128:129], v[34:35], s[20:21]
	v_add_f64 v[112:113], v[146:147], v[112:113]
	v_add_f64 v[130:131], v[128:129], -v[130:131]
	v_add_f64 v[128:129], v[140:141], v[112:113]
	v_mul_f64 v[112:113], v[92:93], s[16:17]
	v_add_f64 v[126:127], v[130:131], v[126:127]
	v_mul_f64 v[130:131], v[82:83], s[20:21]
	v_mul_f64 v[140:141], v[84:85], s[14:15]
	v_add_f64 v[112:113], v[124:125], v[112:113]
	v_mul_f64 v[124:125], v[80:81], s[16:17]
	v_add_f64 v[130:131], v[130:131], -v[132:133]
	v_mul_f64 v[132:133], v[88:89], s[6:7]
	v_add_f64 v[140:141], v[168:169], v[140:141]
	v_add_f64 v[112:113], v[112:113], v[186:187]
	v_add_f64 v[122:123], v[124:125], -v[122:123]
	v_mul_f64 v[124:125], v[90:91], s[20:21]
	v_add_f64 v[132:133], v[162:163], v[132:133]
	v_add_f64 v[122:123], v[122:123], v[180:181]
	;; [unrolled: 1-line block ×3, first 2 shown]
	v_mul_f64 v[136:137], v[76:77], s[6:7]
	v_add_f64 v[122:123], v[130:131], v[122:123]
	v_add_f64 v[112:113], v[124:125], v[112:113]
	v_mul_f64 v[124:125], v[34:35], s[14:15]
	v_add_f64 v[136:137], v[136:137], -v[158:159]
	v_add_f64 v[112:113], v[132:133], v[112:113]
	v_add_f64 v[130:131], v[124:125], -v[164:165]
	v_add_f64 v[122:123], v[136:137], v[122:123]
	v_mul_f64 v[132:133], v[84:85], s[16:17]
	v_add_f64 v[124:125], v[140:141], v[112:113]
	v_mul_f64 v[112:113], v[92:93], s[20:21]
	v_mul_f64 v[92:93], v[92:93], s[6:7]
	v_add_f64 v[122:123], v[130:131], v[122:123]
	v_mul_f64 v[130:131], v[76:77], s[14:15]
	v_add_f64 v[132:133], v[160:161], v[132:133]
	v_add_f64 v[112:113], v[114:115], v[112:113]
	v_mul_f64 v[114:115], v[80:81], s[20:21]
	v_add_f64 v[92:93], v[108:109], v[92:93]
	v_mul_f64 v[108:109], v[80:81], s[6:7]
	v_fma_f64 v[80:81], v[80:81], s[14:15], -v[166:167]
	v_add_f64 v[130:131], v[130:131], -v[134:135]
	v_add_f64 v[112:113], v[112:113], v[188:189]
	v_add_f64 v[110:111], v[114:115], -v[110:111]
	v_mul_f64 v[114:115], v[90:91], s[4:5]
	v_add_f64 v[94:95], v[108:109], -v[94:95]
	v_add_f64 v[70:71], v[92:93], v[192:193]
	v_add_f64 v[110:111], v[110:111], v[182:183]
	;; [unrolled: 1-line block ×3, first 2 shown]
	v_mul_f64 v[120:121], v[82:83], s[4:5]
	v_add_f64 v[72:73], v[94:95], v[184:185]
	v_add_f64 v[48:49], v[52:53], v[70:71]
	v_fma_f64 v[52:53], v[78:79], s[18:19], v[190:191]
	v_fma_f64 v[70:71], v[82:83], s[16:17], -v[156:157]
	v_add_f64 v[112:113], v[114:115], v[112:113]
	v_add_f64 v[118:119], v[120:121], -v[118:119]
	v_mul_f64 v[120:121], v[88:89], s[14:15]
	v_add_f64 v[50:51], v[50:51], v[72:73]
	v_add_f64 v[72:73], v[80:81], v[170:171]
	v_mul_f64 v[114:115], v[34:35], s[16:17]
	v_add_f64 v[52:53], v[52:53], v[54:55]
	v_add_f64 v[26:27], v[46:47], v[48:49]
	v_fma_f64 v[34:35], v[34:35], s[6:7], -v[204:205]
	v_mov_b32_e32 v48, 0x210
	v_mov_b32_e32 v49, 4
	v_add_f64 v[110:111], v[118:119], v[110:111]
	v_add_f64 v[120:121], v[138:139], v[120:121]
	;; [unrolled: 1-line block ×4, first 2 shown]
	v_add_f64 v[114:115], v[114:115], -v[154:155]
	v_add_f64 v[30:31], v[30:31], v[52:53]
	v_add_f64 v[22:23], v[28:29], v[26:27]
	;; [unrolled: 1-line block ×9, first 2 shown]
	v_mul_u32_u24_sdwa v32, v196, v48 dst_sel:DWORD dst_unused:UNUSED_PAD src0_sel:WORD_0 src1_sel:DWORD
	v_lshlrev_b32_sdwa v33, v49, v197 dst_sel:DWORD dst_unused:UNUSED_PAD src0_sel:DWORD src1_sel:BYTE_0
	v_add3_u32 v32, 0, v32, v33
	v_add_f64 v[110:111], v[114:115], v[110:111]
	v_add_f64 v[112:113], v[132:133], v[112:113]
	;; [unrolled: 1-line block ×3, first 2 shown]
	ds_write_b128 v32, v[0:3] offset:336
	ds_write_b128 v32, v[4:7] offset:384
	;; [unrolled: 1-line block ×9, first 2 shown]
	ds_write_b128 v32, v[28:31]
	ds_write_b128 v32, v[12:15] offset:480
.LBB0_25:
	s_or_b32 exec_lo, exec_lo, s1
	s_waitcnt lgkmcnt(0)
	s_barrier
	buffer_gl0_inv
	ds_read_b128 v[28:31], v194
	ds_read_b128 v[48:51], v194 offset:4224
	ds_read_b128 v[44:47], v194 offset:8448
	;; [unrolled: 1-line block ×6, first 2 shown]
	v_cmp_gt_u32_e64 s0, 33, v60
                                        ; implicit-def: $vgpr26_vgpr27
                                        ; implicit-def: $vgpr22_vgpr23
                                        ; implicit-def: $vgpr18_vgpr19
	s_and_saveexec_b32 s1, s0
	s_cbranch_execz .LBB0_27
; %bb.26:
	ds_read_b128 v[0:3], v194 offset:3696
	ds_read_b128 v[4:7], v194 offset:7920
	;; [unrolled: 1-line block ×7, first 2 shown]
.LBB0_27:
	s_or_b32 exec_lo, exec_lo, s1
	v_mul_lo_u16 v70, 0xf9, v195
	v_mov_b32_e32 v71, 6
	s_mov_b32 s8, 0x37e14327
	s_mov_b32 s16, 0xe976ee23
	;; [unrolled: 1-line block ×3, first 2 shown]
	v_lshrrev_b16 v106, 13, v70
	s_mov_b32 s17, 0xbfe11646
	s_mov_b32 s6, 0x429ad128
	;; [unrolled: 1-line block ×4, first 2 shown]
	v_mul_lo_u16 v70, v106, 33
	s_mov_b32 s5, 0x3fac98ee
	s_mov_b32 s14, 0xaaaaaaaa
	s_mov_b32 s22, 0xb247c609
	s_mov_b32 s15, 0xbff2aaaa
	v_sub_nc_u16 v107, v60, v70
	s_mov_b32 s18, 0x5476071b
	s_mov_b32 s23, 0x3fd5d0dc
	;; [unrolled: 1-line block ×4, first 2 shown]
	v_mul_u32_u24_sdwa v70, v107, v71 dst_sel:DWORD dst_unused:UNUSED_PAD src0_sel:BYTE_0 src1_sel:DWORD
	s_mov_b32 s25, 0xbfd5d0dc
	s_mov_b32 s20, s18
	s_mov_b32 s24, s22
	s_mov_b32 s26, 0x37c3f68c
	v_lshlrev_b32_e32 v90, 4, v70
	s_mov_b32 s27, 0x3fdc38aa
	s_clause 0x5
	global_load_dwordx4 v[70:73], v90, s[12:13] offset:480
	global_load_dwordx4 v[74:77], v90, s[12:13] offset:496
	;; [unrolled: 1-line block ×6, first 2 shown]
	s_waitcnt vmcnt(0) lgkmcnt(0)
	s_barrier
	buffer_gl0_inv
	v_mul_f64 v[94:95], v[50:51], v[72:73]
	v_mul_f64 v[72:73], v[48:49], v[72:73]
	;; [unrolled: 1-line block ×12, first 2 shown]
	v_fma_f64 v[48:49], v[48:49], v[70:71], -v[94:95]
	v_fma_f64 v[50:51], v[50:51], v[70:71], v[72:73]
	v_fma_f64 v[44:45], v[44:45], v[74:75], -v[96:97]
	v_fma_f64 v[46:47], v[46:47], v[74:75], v[76:77]
	;; [unrolled: 2-line block ×6, first 2 shown]
	v_add_f64 v[70:71], v[48:49], v[52:53]
	v_add_f64 v[72:73], v[50:51], v[54:55]
	;; [unrolled: 1-line block ×4, first 2 shown]
	v_add_f64 v[40:41], v[44:45], -v[40:41]
	v_add_f64 v[42:43], v[46:47], -v[42:43]
	v_add_f64 v[44:45], v[36:37], v[32:33]
	v_add_f64 v[46:47], v[38:39], v[34:35]
	v_add_f64 v[32:33], v[32:33], -v[36:37]
	v_add_f64 v[34:35], v[34:35], -v[38:39]
	v_add_f64 v[36:37], v[48:49], -v[52:53]
	v_add_f64 v[38:39], v[50:51], -v[54:55]
	v_add_f64 v[48:49], v[74:75], v[70:71]
	v_add_f64 v[50:51], v[76:77], v[72:73]
	v_add_f64 v[52:53], v[70:71], -v[44:45]
	v_add_f64 v[54:55], v[72:73], -v[46:47]
	;; [unrolled: 1-line block ×6, first 2 shown]
	v_add_f64 v[40:41], v[32:33], v[40:41]
	v_add_f64 v[42:43], v[34:35], v[42:43]
	v_add_f64 v[32:33], v[36:37], -v[32:33]
	v_add_f64 v[34:35], v[38:39], -v[34:35]
	;; [unrolled: 1-line block ×4, first 2 shown]
	v_add_f64 v[48:49], v[44:45], v[48:49]
	v_add_f64 v[50:51], v[46:47], v[50:51]
	v_add_f64 v[44:45], v[44:45], -v[74:75]
	v_add_f64 v[46:47], v[46:47], -v[76:77]
	v_mul_f64 v[52:53], v[52:53], s[8:9]
	v_mul_f64 v[54:55], v[54:55], s[8:9]
	;; [unrolled: 1-line block ×6, first 2 shown]
	v_add_f64 v[36:37], v[40:41], v[36:37]
	v_add_f64 v[38:39], v[42:43], v[38:39]
	;; [unrolled: 1-line block ×4, first 2 shown]
	v_mul_f64 v[74:75], v[44:45], s[4:5]
	v_mul_f64 v[76:77], v[46:47], s[4:5]
	v_fma_f64 v[40:41], v[44:45], s[4:5], v[52:53]
	v_fma_f64 v[42:43], v[46:47], s[4:5], v[54:55]
	;; [unrolled: 1-line block ×4, first 2 shown]
	v_fma_f64 v[78:79], v[82:83], s[6:7], -v[78:79]
	v_fma_f64 v[80:81], v[84:85], s[6:7], -v[80:81]
	v_fma_f64 v[32:33], v[32:33], s[24:25], -v[86:87]
	v_fma_f64 v[34:35], v[34:35], s[24:25], -v[88:89]
	v_fma_f64 v[52:53], v[70:71], s[20:21], -v[52:53]
	v_fma_f64 v[54:55], v[72:73], s[20:21], -v[54:55]
	v_fma_f64 v[48:49], v[48:49], s[14:15], v[28:29]
	v_fma_f64 v[50:51], v[50:51], s[14:15], v[30:31]
	v_fma_f64 v[70:71], v[70:71], s[18:19], -v[74:75]
	v_fma_f64 v[72:73], v[72:73], s[18:19], -v[76:77]
	v_fma_f64 v[74:75], v[36:37], s[26:27], v[44:45]
	v_fma_f64 v[76:77], v[38:39], s[26:27], v[46:47]
	v_fma_f64 v[46:47], v[36:37], s[26:27], v[78:79]
	v_fma_f64 v[44:45], v[38:39], s[26:27], v[80:81]
	v_fma_f64 v[78:79], v[36:37], s[26:27], v[32:33]
	v_fma_f64 v[80:81], v[38:39], s[26:27], v[34:35]
	v_add_f64 v[82:83], v[40:41], v[48:49]
	v_add_f64 v[84:85], v[42:43], v[50:51]
	;; [unrolled: 1-line block ×6, first 2 shown]
	v_mov_b32_e32 v70, 0xe70
	v_mov_b32_e32 v71, 4
	v_mul_u32_u24_sdwa v70, v106, v70 dst_sel:DWORD dst_unused:UNUSED_PAD src0_sel:WORD_0 src1_sel:DWORD
	v_lshlrev_b32_sdwa v71, v71, v107 dst_sel:DWORD dst_unused:UNUSED_PAD src0_sel:DWORD src1_sel:BYTE_0
	v_add3_u32 v70, 0, v70, v71
	v_add_f64 v[32:33], v[76:77], v[82:83]
	v_add_f64 v[34:35], v[84:85], -v[74:75]
	v_add_f64 v[36:37], v[80:81], v[52:53]
	v_add_f64 v[38:39], v[54:55], -v[78:79]
	v_add_f64 v[40:41], v[48:49], -v[44:45]
	v_add_f64 v[42:43], v[46:47], v[50:51]
	v_add_f64 v[44:45], v[44:45], v[48:49]
	v_add_f64 v[46:47], v[50:51], -v[46:47]
	v_add_f64 v[48:49], v[52:53], -v[80:81]
	v_add_f64 v[50:51], v[78:79], v[54:55]
	v_add_f64 v[52:53], v[82:83], -v[76:77]
	v_add_f64 v[54:55], v[74:75], v[84:85]
	ds_write_b128 v70, v[28:31]
	ds_write_b128 v70, v[32:35] offset:528
	ds_write_b128 v70, v[36:39] offset:1056
	;; [unrolled: 1-line block ×6, first 2 shown]
	s_and_saveexec_b32 s1, s0
	s_cbranch_execz .LBB0_29
; %bb.28:
	v_mov_b32_e32 v28, 0xf83f
	v_mul_u32_u24_sdwa v28, v69, v28 dst_sel:DWORD dst_unused:UNUSED_PAD src0_sel:WORD_0 src1_sel:DWORD
	v_lshrrev_b32_e32 v28, 21, v28
	v_mul_lo_u16 v28, v28, 33
	v_sub_nc_u16 v28, v69, v28
	v_and_b32_e32 v77, 0xffff, v28
	v_mul_u32_u24_e32 v28, 6, v77
	v_lshlrev_b32_e32 v48, 4, v28
	s_clause 0x5
	global_load_dwordx4 v[28:31], v48, s[12:13] offset:496
	global_load_dwordx4 v[32:35], v48, s[12:13] offset:544
	;; [unrolled: 1-line block ×6, first 2 shown]
	s_waitcnt vmcnt(5)
	v_mul_f64 v[52:53], v[8:9], v[30:31]
	s_waitcnt vmcnt(4)
	v_mul_f64 v[54:55], v[20:21], v[34:35]
	;; [unrolled: 2-line block ×4, first 2 shown]
	v_mul_f64 v[30:31], v[10:11], v[30:31]
	v_mul_f64 v[34:35], v[22:23], v[34:35]
	;; [unrolled: 1-line block ×4, first 2 shown]
	s_waitcnt vmcnt(1)
	v_mul_f64 v[73:74], v[18:19], v[46:47]
	s_waitcnt vmcnt(0)
	v_mul_f64 v[75:76], v[14:15], v[50:51]
	v_mul_f64 v[50:51], v[12:13], v[50:51]
	;; [unrolled: 1-line block ×3, first 2 shown]
	v_fma_f64 v[10:11], v[10:11], v[28:29], v[52:53]
	v_fma_f64 v[22:23], v[22:23], v[32:33], v[54:55]
	;; [unrolled: 1-line block ×4, first 2 shown]
	v_fma_f64 v[8:9], v[8:9], v[28:29], -v[30:31]
	v_fma_f64 v[20:21], v[20:21], v[32:33], -v[34:35]
	;; [unrolled: 1-line block ×6, first 2 shown]
	v_fma_f64 v[14:15], v[14:15], v[48:49], v[50:51]
	v_fma_f64 v[18:19], v[18:19], v[44:45], v[46:47]
	v_add_f64 v[28:29], v[10:11], v[22:23]
	v_add_f64 v[10:11], v[10:11], -v[22:23]
	v_add_f64 v[30:31], v[6:7], v[26:27]
	v_add_f64 v[6:7], v[6:7], -v[26:27]
	;; [unrolled: 2-line block ×4, first 2 shown]
	v_add_f64 v[36:37], v[16:17], -v[12:13]
	v_add_f64 v[12:13], v[12:13], v[16:17]
	v_add_f64 v[20:21], v[14:15], v[18:19]
	v_add_f64 v[14:15], v[18:19], -v[14:15]
	v_add_f64 v[16:17], v[28:29], v[30:31]
	v_add_f64 v[42:43], v[10:11], -v[6:7]
	;; [unrolled: 2-line block ×3, first 2 shown]
	v_add_f64 v[22:23], v[36:37], -v[8:9]
	v_add_f64 v[26:27], v[34:35], -v[12:13]
	;; [unrolled: 1-line block ×4, first 2 shown]
	v_add_f64 v[8:9], v[36:37], v[8:9]
	v_add_f64 v[36:37], v[4:5], -v[36:37]
	v_add_f64 v[10:11], v[14:15], v[10:11]
	v_add_f64 v[14:15], v[6:7], -v[14:15]
	v_add_f64 v[16:17], v[20:21], v[16:17]
	v_add_f64 v[20:21], v[20:21], -v[28:29]
	v_add_f64 v[28:29], v[28:29], -v[30:31]
	v_mul_f64 v[46:47], v[42:43], s[6:7]
	v_add_f64 v[18:19], v[12:13], v[18:19]
	v_add_f64 v[12:13], v[12:13], -v[32:33]
	v_mul_f64 v[22:23], v[22:23], s[16:17]
	v_mul_f64 v[26:27], v[26:27], s[8:9]
	;; [unrolled: 1-line block ×5, first 2 shown]
	v_add_f64 v[32:33], v[32:33], -v[34:35]
	v_add_f64 v[4:5], v[8:9], v[4:5]
	v_add_f64 v[6:7], v[10:11], v[6:7]
	;; [unrolled: 1-line block ×3, first 2 shown]
	v_mul_f64 v[30:31], v[20:21], s[4:5]
	v_add_f64 v[0:1], v[0:1], v[18:19]
	v_mul_f64 v[34:35], v[12:13], s[4:5]
	v_fma_f64 v[8:9], v[36:37], s[22:23], v[22:23]
	v_fma_f64 v[12:13], v[12:13], s[4:5], v[26:27]
	;; [unrolled: 1-line block ×3, first 2 shown]
	v_fma_f64 v[20:21], v[36:37], s[24:25], -v[44:45]
	v_fma_f64 v[22:23], v[38:39], s[6:7], -v[22:23]
	;; [unrolled: 1-line block ×5, first 2 shown]
	v_fma_f64 v[16:17], v[16:17], s[14:15], v[2:3]
	v_fma_f64 v[28:29], v[28:29], s[18:19], -v[30:31]
	v_fma_f64 v[30:31], v[14:15], s[22:23], v[40:41]
	v_fma_f64 v[14:15], v[14:15], s[24:25], -v[46:47]
	;; [unrolled: 2-line block ×3, first 2 shown]
	v_fma_f64 v[8:9], v[4:5], s[26:27], v[8:9]
	v_fma_f64 v[20:21], v[4:5], s[26:27], v[20:21]
	;; [unrolled: 1-line block ×4, first 2 shown]
	v_add_f64 v[34:35], v[10:11], v[16:17]
	v_add_f64 v[22:23], v[24:25], v[16:17]
	;; [unrolled: 1-line block ×3, first 2 shown]
	v_fma_f64 v[28:29], v[6:7], s[26:27], v[30:31]
	v_add_f64 v[38:39], v[12:13], v[18:19]
	v_fma_f64 v[30:31], v[6:7], s[26:27], v[14:15]
	v_add_f64 v[40:41], v[26:27], v[18:19]
	v_add_f64 v[12:13], v[32:33], v[18:19]
	v_add_f64 v[26:27], v[34:35], -v[8:9]
	v_add_f64 v[10:11], v[20:21], v[22:23]
	v_add_f64 v[22:23], v[22:23], -v[20:21]
	v_add_f64 v[14:15], v[16:17], -v[4:5]
	v_add_f64 v[24:25], v[28:29], v[38:39]
	v_add_f64 v[18:19], v[4:5], v[16:17]
	;; [unrolled: 1-line block ×3, first 2 shown]
	v_add_f64 v[16:17], v[12:13], -v[36:37]
	v_add_f64 v[12:13], v[36:37], v[12:13]
	v_add_f64 v[6:7], v[8:9], v[34:35]
	v_add_f64 v[8:9], v[40:41], -v[30:31]
	v_add_f64 v[4:5], v[38:39], -v[28:29]
	v_lshl_add_u32 v28, v77, 4, 0
	ds_write_b128 v28, v[0:3] offset:25872
	ds_write_b128 v28, v[24:27] offset:26400
	;; [unrolled: 1-line block ×7, first 2 shown]
.LBB0_29:
	s_or_b32 exec_lo, exec_lo, s1
	v_mul_u32_u24_e32 v0, 3, v60
	s_waitcnt lgkmcnt(0)
	s_barrier
	buffer_gl0_inv
	v_lshlrev_b32_e32 v0, 4, v0
	v_add_co_u32 v2, s0, s12, v0
	v_add_co_ci_u32_e64 v3, null, s13, 0, s0
	v_add_co_u32 v0, s0, 0x800, v2
	v_add_co_ci_u32_e64 v1, s0, 0, v3, s0
	v_add_co_u32 v8, s0, 0xe40, v2
	v_add_co_ci_u32_e64 v9, s0, 0, v3, s0
	s_clause 0x2
	global_load_dwordx4 v[0:3], v[0:1], off offset:1600
	global_load_dwordx4 v[4:7], v[8:9], off offset:16
	;; [unrolled: 1-line block ×3, first 2 shown]
	ds_read_b128 v[12:15], v194 offset:7392
	ds_read_b128 v[16:19], v194 offset:14784
	;; [unrolled: 1-line block ×6, first 2 shown]
	ds_read_b128 v[36:39], v194
	ds_read_b128 v[40:43], v194 offset:3696
	s_waitcnt vmcnt(0) lgkmcnt(0)
	s_barrier
	buffer_gl0_inv
	v_mul_f64 v[44:45], v[14:15], v[2:3]
	v_mul_f64 v[46:47], v[12:13], v[2:3]
	;; [unrolled: 1-line block ×12, first 2 shown]
	v_fma_f64 v[12:13], v[12:13], v[0:1], -v[44:45]
	v_fma_f64 v[14:15], v[14:15], v[0:1], v[46:47]
	v_fma_f64 v[16:17], v[16:17], v[4:5], -v[48:49]
	v_fma_f64 v[18:19], v[18:19], v[4:5], v[50:51]
	;; [unrolled: 2-line block ×6, first 2 shown]
	v_add_f64 v[16:17], v[36:37], -v[16:17]
	v_add_f64 v[18:19], v[38:39], -v[18:19]
	;; [unrolled: 1-line block ×8, first 2 shown]
	v_fma_f64 v[28:29], v[36:37], 2.0, -v[16:17]
	v_fma_f64 v[30:31], v[38:39], 2.0, -v[18:19]
	;; [unrolled: 1-line block ×4, first 2 shown]
	v_add_f64 v[2:3], v[18:19], v[10:11]
	v_add_co_u32 v36, s0, s12, v61
	v_fma_f64 v[32:33], v[40:41], 2.0, -v[22:23]
	v_fma_f64 v[34:35], v[42:43], 2.0, -v[26:27]
	v_fma_f64 v[14:15], v[24:25], 2.0, -v[6:7]
	v_fma_f64 v[24:25], v[0:1], 2.0, -v[4:5]
	v_add_f64 v[0:1], v[16:17], -v[20:21]
	v_add_f64 v[4:5], v[22:23], -v[4:5]
	v_add_f64 v[6:7], v[26:27], v[6:7]
	v_add_co_ci_u32_e64 v37, s0, s13, v62, s0
	v_add_co_u32 v38, s0, s12, v63
	v_add_co_ci_u32_e64 v39, s0, s13, v64, s0
	v_add_co_u32 v40, s0, s12, v65
	v_add_co_ci_u32_e64 v41, s0, s13, v66, s0
	v_add_f64 v[8:9], v[28:29], -v[8:9]
	v_add_f64 v[10:11], v[30:31], -v[12:13]
	v_fma_f64 v[18:19], v[18:19], 2.0, -v[2:3]
	v_add_co_u32 v42, s0, s12, v67
	v_add_co_ci_u32_e64 v43, s0, s13, v68, s0
	v_add_f64 v[12:13], v[32:33], -v[14:15]
	v_add_f64 v[14:15], v[34:35], -v[24:25]
	v_fma_f64 v[16:17], v[16:17], 2.0, -v[0:1]
	v_fma_f64 v[20:21], v[22:23], 2.0, -v[4:5]
	;; [unrolled: 1-line block ×7, first 2 shown]
	v_add_co_u32 v32, s0, 0x3800, v36
	v_add_co_ci_u32_e64 v33, s0, 0, v37, s0
	v_add_co_u32 v34, s0, 0x3800, v38
	v_add_co_ci_u32_e64 v35, s0, 0, v39, s0
	;; [unrolled: 2-line block ×3, first 2 shown]
	ds_write_b128 v194, v[0:3] offset:11088
	ds_write_b128 v194, v[4:7] offset:25872
	;; [unrolled: 1-line block ×6, first 2 shown]
	ds_write_b128 v194, v[24:27]
	ds_write_b128 v194, v[28:31] offset:14784
	v_add_co_u32 v12, s0, 0x3800, v42
	s_waitcnt lgkmcnt(0)
	s_barrier
	buffer_gl0_inv
	global_load_dwordx4 v[0:3], v[32:33], off offset:400
	v_add_co_ci_u32_e64 v13, s0, 0, v43, s0
	s_clause 0x2
	global_load_dwordx4 v[4:7], v[34:35], off offset:400
	global_load_dwordx4 v[8:11], v[36:37], off offset:400
	;; [unrolled: 1-line block ×3, first 2 shown]
	ds_read_b128 v[16:19], v194 offset:14784
	ds_read_b128 v[20:23], v194 offset:18480
	;; [unrolled: 1-line block ×4, first 2 shown]
	ds_read_b128 v[32:35], v194
	ds_read_b128 v[36:39], v194 offset:3696
	s_waitcnt vmcnt(3) lgkmcnt(5)
	v_mul_f64 v[40:41], v[18:19], v[2:3]
	v_mul_f64 v[2:3], v[16:17], v[2:3]
	s_waitcnt vmcnt(2) lgkmcnt(4)
	v_mul_f64 v[42:43], v[22:23], v[6:7]
	v_mul_f64 v[6:7], v[20:21], v[6:7]
	;; [unrolled: 3-line block ×4, first 2 shown]
	v_fma_f64 v[16:17], v[16:17], v[0:1], -v[40:41]
	v_fma_f64 v[18:19], v[18:19], v[0:1], v[2:3]
	v_fma_f64 v[20:21], v[20:21], v[4:5], -v[42:43]
	v_fma_f64 v[22:23], v[22:23], v[4:5], v[6:7]
	;; [unrolled: 2-line block ×4, first 2 shown]
	ds_read_b128 v[0:3], v194 offset:7392
	ds_read_b128 v[4:7], v194 offset:11088
	s_waitcnt lgkmcnt(0)
	s_barrier
	buffer_gl0_inv
	v_add_f64 v[8:9], v[32:33], -v[16:17]
	v_add_f64 v[10:11], v[34:35], -v[18:19]
	;; [unrolled: 1-line block ×8, first 2 shown]
	v_fma_f64 v[24:25], v[32:33], 2.0, -v[8:9]
	v_fma_f64 v[26:27], v[34:35], 2.0, -v[10:11]
	v_fma_f64 v[28:29], v[36:37], 2.0, -v[12:13]
	v_fma_f64 v[30:31], v[38:39], 2.0, -v[14:15]
	v_fma_f64 v[0:1], v[0:1], 2.0, -v[16:17]
	v_fma_f64 v[2:3], v[2:3], 2.0, -v[18:19]
	v_fma_f64 v[4:5], v[4:5], 2.0, -v[20:21]
	v_fma_f64 v[6:7], v[6:7], 2.0, -v[22:23]
	ds_write_b128 v194, v[8:11] offset:14784
	ds_write_b128 v194, v[12:15] offset:18480
	;; [unrolled: 1-line block ×4, first 2 shown]
	ds_write_b128 v194, v[24:27]
	ds_write_b128 v194, v[28:31] offset:3696
	ds_write_b128 v194, v[0:3] offset:7392
	;; [unrolled: 1-line block ×3, first 2 shown]
	s_waitcnt lgkmcnt(0)
	s_barrier
	buffer_gl0_inv
	s_and_saveexec_b32 s0, vcc_lo
	s_cbranch_execz .LBB0_31
; %bb.30:
	v_mul_lo_u32 v2, s3, v58
	v_mul_lo_u32 v3, s2, v59
	v_mad_u64_u32 v[0:1], null, s2, v58, 0
	v_lshl_add_u32 v18, v60, 4, 0
	v_mov_b32_e32 v61, 0
	v_lshlrev_b64 v[8:9], 4, v[56:57]
	v_add_nc_u32_e32 v12, 0xe7, v60
	v_add_nc_u32_e32 v14, 0x1ce, v60
	;; [unrolled: 1-line block ×3, first 2 shown]
	v_add3_u32 v1, v1, v3, v2
	v_lshlrev_b64 v[16:17], 4, v[60:61]
	v_mov_b32_e32 v13, v61
	v_mov_b32_e32 v15, v61
	;; [unrolled: 1-line block ×3, first 2 shown]
	v_lshlrev_b64 v[10:11], 4, v[0:1]
	ds_read_b128 v[0:3], v18
	ds_read_b128 v[4:7], v18 offset:3696
	v_lshlrev_b64 v[12:13], 4, v[12:13]
	v_lshlrev_b64 v[14:15], 4, v[14:15]
	;; [unrolled: 1-line block ×3, first 2 shown]
	v_add_co_u32 v10, vcc_lo, s10, v10
	v_add_co_ci_u32_e32 v11, vcc_lo, s11, v11, vcc_lo
	v_add_co_u32 v30, vcc_lo, v10, v8
	v_add_co_ci_u32_e32 v31, vcc_lo, v11, v9, vcc_lo
	ds_read_b128 v[8:11], v18 offset:7392
	v_add_co_u32 v16, vcc_lo, v30, v16
	v_add_co_ci_u32_e32 v17, vcc_lo, v31, v17, vcc_lo
	s_waitcnt lgkmcnt(2)
	global_store_dwordx4 v[16:17], v[0:3], off
	v_add_co_u32 v0, vcc_lo, v30, v12
	v_add_co_ci_u32_e32 v1, vcc_lo, v31, v13, vcc_lo
	v_add_nc_u32_e32 v2, 0x2b5, v60
	v_mov_b32_e32 v3, v61
	v_add_co_u32 v12, vcc_lo, v30, v14
	v_add_co_ci_u32_e32 v13, vcc_lo, v31, v15, vcc_lo
	v_add_nc_u32_e32 v14, 0x39c, v60
	v_mov_b32_e32 v15, v61
	v_lshlrev_b64 v[16:17], 4, v[2:3]
	s_waitcnt lgkmcnt(1)
	global_store_dwordx4 v[0:1], v[4:7], off
	ds_read_b128 v[0:3], v18 offset:11088
	s_waitcnt lgkmcnt(1)
	global_store_dwordx4 v[12:13], v[8:11], off
	v_lshlrev_b64 v[4:5], 4, v[14:15]
	v_add_nc_u32_e32 v12, 0x483, v60
	v_add_co_u32 v20, vcc_lo, v30, v16
	v_mov_b32_e32 v13, v61
	v_add_co_ci_u32_e32 v21, vcc_lo, v31, v17, vcc_lo
	v_add_co_u32 v22, vcc_lo, v30, v4
	v_add_co_ci_u32_e32 v23, vcc_lo, v31, v5, vcc_lo
	ds_read_b128 v[4:7], v18 offset:14784
	ds_read_b128 v[8:11], v18 offset:18480
	v_lshlrev_b64 v[26:27], 4, v[12:13]
	ds_read_b128 v[12:15], v18 offset:22176
	ds_read_b128 v[16:19], v18 offset:25872
	v_add_nc_u32_e32 v60, 0x651, v60
	v_add_co_u32 v26, vcc_lo, v30, v26
	v_lshlrev_b64 v[28:29], 4, v[60:61]
	v_add_co_ci_u32_e32 v27, vcc_lo, v31, v27, vcc_lo
	v_add_co_u32 v24, vcc_lo, v30, v24
	v_add_co_ci_u32_e32 v25, vcc_lo, v31, v25, vcc_lo
	v_add_co_u32 v28, vcc_lo, v30, v28
	v_add_co_ci_u32_e32 v29, vcc_lo, v31, v29, vcc_lo
	s_waitcnt lgkmcnt(4)
	global_store_dwordx4 v[20:21], v[0:3], off
	s_waitcnt lgkmcnt(3)
	global_store_dwordx4 v[22:23], v[4:7], off
	;; [unrolled: 2-line block ×5, first 2 shown]
.LBB0_31:
	s_endpgm
	.section	.rodata,"a",@progbits
	.p2align	6, 0x0
	.amdhsa_kernel fft_rtc_fwd_len1848_factors_3_11_7_4_2_wgs_231_tpt_231_halfLds_dp_op_CI_CI_unitstride_sbrr_C2R_dirReg
		.amdhsa_group_segment_fixed_size 0
		.amdhsa_private_segment_fixed_size 0
		.amdhsa_kernarg_size 104
		.amdhsa_user_sgpr_count 6
		.amdhsa_user_sgpr_private_segment_buffer 1
		.amdhsa_user_sgpr_dispatch_ptr 0
		.amdhsa_user_sgpr_queue_ptr 0
		.amdhsa_user_sgpr_kernarg_segment_ptr 1
		.amdhsa_user_sgpr_dispatch_id 0
		.amdhsa_user_sgpr_flat_scratch_init 0
		.amdhsa_user_sgpr_private_segment_size 0
		.amdhsa_wavefront_size32 1
		.amdhsa_uses_dynamic_stack 0
		.amdhsa_system_sgpr_private_segment_wavefront_offset 0
		.amdhsa_system_sgpr_workgroup_id_x 1
		.amdhsa_system_sgpr_workgroup_id_y 0
		.amdhsa_system_sgpr_workgroup_id_z 0
		.amdhsa_system_sgpr_workgroup_info 0
		.amdhsa_system_vgpr_workitem_id 0
		.amdhsa_next_free_vgpr 230
		.amdhsa_next_free_sgpr 38
		.amdhsa_reserve_vcc 1
		.amdhsa_reserve_flat_scratch 0
		.amdhsa_float_round_mode_32 0
		.amdhsa_float_round_mode_16_64 0
		.amdhsa_float_denorm_mode_32 3
		.amdhsa_float_denorm_mode_16_64 3
		.amdhsa_dx10_clamp 1
		.amdhsa_ieee_mode 1
		.amdhsa_fp16_overflow 0
		.amdhsa_workgroup_processor_mode 1
		.amdhsa_memory_ordered 1
		.amdhsa_forward_progress 0
		.amdhsa_shared_vgpr_count 0
		.amdhsa_exception_fp_ieee_invalid_op 0
		.amdhsa_exception_fp_denorm_src 0
		.amdhsa_exception_fp_ieee_div_zero 0
		.amdhsa_exception_fp_ieee_overflow 0
		.amdhsa_exception_fp_ieee_underflow 0
		.amdhsa_exception_fp_ieee_inexact 0
		.amdhsa_exception_int_div_zero 0
	.end_amdhsa_kernel
	.text
.Lfunc_end0:
	.size	fft_rtc_fwd_len1848_factors_3_11_7_4_2_wgs_231_tpt_231_halfLds_dp_op_CI_CI_unitstride_sbrr_C2R_dirReg, .Lfunc_end0-fft_rtc_fwd_len1848_factors_3_11_7_4_2_wgs_231_tpt_231_halfLds_dp_op_CI_CI_unitstride_sbrr_C2R_dirReg
                                        ; -- End function
	.section	.AMDGPU.csdata,"",@progbits
; Kernel info:
; codeLenInByte = 10988
; NumSgprs: 40
; NumVgprs: 230
; ScratchSize: 0
; MemoryBound: 0
; FloatMode: 240
; IeeeMode: 1
; LDSByteSize: 0 bytes/workgroup (compile time only)
; SGPRBlocks: 4
; VGPRBlocks: 28
; NumSGPRsForWavesPerEU: 40
; NumVGPRsForWavesPerEU: 230
; Occupancy: 4
; WaveLimiterHint : 1
; COMPUTE_PGM_RSRC2:SCRATCH_EN: 0
; COMPUTE_PGM_RSRC2:USER_SGPR: 6
; COMPUTE_PGM_RSRC2:TRAP_HANDLER: 0
; COMPUTE_PGM_RSRC2:TGID_X_EN: 1
; COMPUTE_PGM_RSRC2:TGID_Y_EN: 0
; COMPUTE_PGM_RSRC2:TGID_Z_EN: 0
; COMPUTE_PGM_RSRC2:TIDIG_COMP_CNT: 0
	.text
	.p2alignl 6, 3214868480
	.fill 48, 4, 3214868480
	.type	__hip_cuid_c459402ae23c003c,@object ; @__hip_cuid_c459402ae23c003c
	.section	.bss,"aw",@nobits
	.globl	__hip_cuid_c459402ae23c003c
__hip_cuid_c459402ae23c003c:
	.byte	0                               ; 0x0
	.size	__hip_cuid_c459402ae23c003c, 1

	.ident	"AMD clang version 19.0.0git (https://github.com/RadeonOpenCompute/llvm-project roc-6.4.0 25133 c7fe45cf4b819c5991fe208aaa96edf142730f1d)"
	.section	".note.GNU-stack","",@progbits
	.addrsig
	.addrsig_sym __hip_cuid_c459402ae23c003c
	.amdgpu_metadata
---
amdhsa.kernels:
  - .args:
      - .actual_access:  read_only
        .address_space:  global
        .offset:         0
        .size:           8
        .value_kind:     global_buffer
      - .offset:         8
        .size:           8
        .value_kind:     by_value
      - .actual_access:  read_only
        .address_space:  global
        .offset:         16
        .size:           8
        .value_kind:     global_buffer
      - .actual_access:  read_only
        .address_space:  global
        .offset:         24
        .size:           8
        .value_kind:     global_buffer
      - .actual_access:  read_only
        .address_space:  global
        .offset:         32
        .size:           8
        .value_kind:     global_buffer
      - .offset:         40
        .size:           8
        .value_kind:     by_value
      - .actual_access:  read_only
        .address_space:  global
        .offset:         48
        .size:           8
        .value_kind:     global_buffer
      - .actual_access:  read_only
        .address_space:  global
        .offset:         56
        .size:           8
        .value_kind:     global_buffer
      - .offset:         64
        .size:           4
        .value_kind:     by_value
      - .actual_access:  read_only
        .address_space:  global
        .offset:         72
        .size:           8
        .value_kind:     global_buffer
      - .actual_access:  read_only
        .address_space:  global
        .offset:         80
        .size:           8
        .value_kind:     global_buffer
      - .actual_access:  read_only
        .address_space:  global
        .offset:         88
        .size:           8
        .value_kind:     global_buffer
      - .actual_access:  write_only
        .address_space:  global
        .offset:         96
        .size:           8
        .value_kind:     global_buffer
    .group_segment_fixed_size: 0
    .kernarg_segment_align: 8
    .kernarg_segment_size: 104
    .language:       OpenCL C
    .language_version:
      - 2
      - 0
    .max_flat_workgroup_size: 231
    .name:           fft_rtc_fwd_len1848_factors_3_11_7_4_2_wgs_231_tpt_231_halfLds_dp_op_CI_CI_unitstride_sbrr_C2R_dirReg
    .private_segment_fixed_size: 0
    .sgpr_count:     40
    .sgpr_spill_count: 0
    .symbol:         fft_rtc_fwd_len1848_factors_3_11_7_4_2_wgs_231_tpt_231_halfLds_dp_op_CI_CI_unitstride_sbrr_C2R_dirReg.kd
    .uniform_work_group_size: 1
    .uses_dynamic_stack: false
    .vgpr_count:     230
    .vgpr_spill_count: 0
    .wavefront_size: 32
    .workgroup_processor_mode: 1
amdhsa.target:   amdgcn-amd-amdhsa--gfx1030
amdhsa.version:
  - 1
  - 2
...

	.end_amdgpu_metadata
